;; amdgpu-corpus repo=ROCm/rocFFT kind=compiled arch=gfx906 opt=O3
	.text
	.amdgcn_target "amdgcn-amd-amdhsa--gfx906"
	.amdhsa_code_object_version 6
	.protected	fft_rtc_fwd_len320_factors_10_4_4_2_wgs_64_tpt_16_halfLds_sp_op_CI_CI_unitstride_sbrr_R2C_dirReg ; -- Begin function fft_rtc_fwd_len320_factors_10_4_4_2_wgs_64_tpt_16_halfLds_sp_op_CI_CI_unitstride_sbrr_R2C_dirReg
	.globl	fft_rtc_fwd_len320_factors_10_4_4_2_wgs_64_tpt_16_halfLds_sp_op_CI_CI_unitstride_sbrr_R2C_dirReg
	.p2align	8
	.type	fft_rtc_fwd_len320_factors_10_4_4_2_wgs_64_tpt_16_halfLds_sp_op_CI_CI_unitstride_sbrr_R2C_dirReg,@function
fft_rtc_fwd_len320_factors_10_4_4_2_wgs_64_tpt_16_halfLds_sp_op_CI_CI_unitstride_sbrr_R2C_dirReg: ; @fft_rtc_fwd_len320_factors_10_4_4_2_wgs_64_tpt_16_halfLds_sp_op_CI_CI_unitstride_sbrr_R2C_dirReg
; %bb.0:
	s_load_dwordx4 s[8:11], s[4:5], 0x58
	s_load_dwordx4 s[12:15], s[4:5], 0x0
	;; [unrolled: 1-line block ×3, first 2 shown]
	v_lshrrev_b32_e32 v7, 4, v0
	v_mov_b32_e32 v3, 0
	v_mov_b32_e32 v1, 0
	s_waitcnt lgkmcnt(0)
	v_cmp_lt_u64_e64 s[0:1], s[14:15], 2
	v_lshl_or_b32 v5, s6, 2, v7
	v_mov_b32_e32 v6, v3
	s_and_b64 vcc, exec, s[0:1]
	v_mov_b32_e32 v2, 0
	s_cbranch_vccnz .LBB0_8
; %bb.1:
	s_load_dwordx2 s[0:1], s[4:5], 0x10
	s_add_u32 s2, s18, 8
	s_addc_u32 s3, s19, 0
	s_add_u32 s6, s16, 8
	v_mov_b32_e32 v1, 0
	s_addc_u32 s7, s17, 0
	v_mov_b32_e32 v2, 0
	s_waitcnt lgkmcnt(0)
	s_add_u32 s20, s0, 8
	v_mov_b32_e32 v37, v2
	s_addc_u32 s21, s1, 0
	s_mov_b64 s[22:23], 1
	v_mov_b32_e32 v36, v1
.LBB0_2:                                ; =>This Inner Loop Header: Depth=1
	s_load_dwordx2 s[24:25], s[20:21], 0x0
                                        ; implicit-def: $vgpr40_vgpr41
	s_waitcnt lgkmcnt(0)
	v_or_b32_e32 v4, s25, v6
	v_cmp_ne_u64_e32 vcc, 0, v[3:4]
	s_and_saveexec_b64 s[0:1], vcc
	s_xor_b64 s[26:27], exec, s[0:1]
	s_cbranch_execz .LBB0_4
; %bb.3:                                ;   in Loop: Header=BB0_2 Depth=1
	v_cvt_f32_u32_e32 v4, s24
	v_cvt_f32_u32_e32 v8, s25
	s_sub_u32 s0, 0, s24
	s_subb_u32 s1, 0, s25
	v_mac_f32_e32 v4, 0x4f800000, v8
	v_rcp_f32_e32 v4, v4
	v_mul_f32_e32 v4, 0x5f7ffffc, v4
	v_mul_f32_e32 v8, 0x2f800000, v4
	v_trunc_f32_e32 v8, v8
	v_mac_f32_e32 v4, 0xcf800000, v8
	v_cvt_u32_f32_e32 v8, v8
	v_cvt_u32_f32_e32 v4, v4
	v_mul_lo_u32 v9, s0, v8
	v_mul_hi_u32 v10, s0, v4
	v_mul_lo_u32 v12, s1, v4
	v_mul_lo_u32 v11, s0, v4
	v_add_u32_e32 v9, v10, v9
	v_add_u32_e32 v9, v9, v12
	v_mul_hi_u32 v10, v4, v11
	v_mul_lo_u32 v12, v4, v9
	v_mul_hi_u32 v14, v4, v9
	v_mul_hi_u32 v13, v8, v11
	v_mul_lo_u32 v11, v8, v11
	v_mul_hi_u32 v15, v8, v9
	v_add_co_u32_e32 v10, vcc, v10, v12
	v_addc_co_u32_e32 v12, vcc, 0, v14, vcc
	v_mul_lo_u32 v9, v8, v9
	v_add_co_u32_e32 v10, vcc, v10, v11
	v_addc_co_u32_e32 v10, vcc, v12, v13, vcc
	v_addc_co_u32_e32 v11, vcc, 0, v15, vcc
	v_add_co_u32_e32 v9, vcc, v10, v9
	v_addc_co_u32_e32 v10, vcc, 0, v11, vcc
	v_add_co_u32_e32 v4, vcc, v4, v9
	v_addc_co_u32_e32 v8, vcc, v8, v10, vcc
	v_mul_lo_u32 v9, s0, v8
	v_mul_hi_u32 v10, s0, v4
	v_mul_lo_u32 v11, s1, v4
	v_mul_lo_u32 v12, s0, v4
	v_add_u32_e32 v9, v10, v9
	v_add_u32_e32 v9, v9, v11
	v_mul_lo_u32 v13, v4, v9
	v_mul_hi_u32 v14, v4, v12
	v_mul_hi_u32 v15, v4, v9
	v_mul_hi_u32 v11, v8, v12
	v_mul_lo_u32 v12, v8, v12
	v_mul_hi_u32 v10, v8, v9
	v_add_co_u32_e32 v13, vcc, v14, v13
	v_addc_co_u32_e32 v14, vcc, 0, v15, vcc
	v_mul_lo_u32 v9, v8, v9
	v_add_co_u32_e32 v12, vcc, v13, v12
	v_addc_co_u32_e32 v11, vcc, v14, v11, vcc
	v_addc_co_u32_e32 v10, vcc, 0, v10, vcc
	v_add_co_u32_e32 v9, vcc, v11, v9
	v_addc_co_u32_e32 v10, vcc, 0, v10, vcc
	v_add_co_u32_e32 v4, vcc, v4, v9
	v_addc_co_u32_e32 v10, vcc, v8, v10, vcc
	v_mad_u64_u32 v[8:9], s[0:1], v5, v10, 0
	v_mul_hi_u32 v11, v5, v4
	v_add_co_u32_e32 v12, vcc, v11, v8
	v_addc_co_u32_e32 v13, vcc, 0, v9, vcc
	v_mad_u64_u32 v[8:9], s[0:1], v6, v4, 0
	v_mad_u64_u32 v[10:11], s[0:1], v6, v10, 0
	v_add_co_u32_e32 v4, vcc, v12, v8
	v_addc_co_u32_e32 v4, vcc, v13, v9, vcc
	v_addc_co_u32_e32 v8, vcc, 0, v11, vcc
	v_add_co_u32_e32 v4, vcc, v4, v10
	v_addc_co_u32_e32 v10, vcc, 0, v8, vcc
	v_mul_lo_u32 v11, s25, v4
	v_mul_lo_u32 v12, s24, v10
	v_mad_u64_u32 v[8:9], s[0:1], s24, v4, 0
	v_add3_u32 v9, v9, v12, v11
	v_sub_u32_e32 v11, v6, v9
	v_mov_b32_e32 v12, s25
	v_sub_co_u32_e32 v8, vcc, v5, v8
	v_subb_co_u32_e64 v11, s[0:1], v11, v12, vcc
	v_subrev_co_u32_e64 v12, s[0:1], s24, v8
	v_subbrev_co_u32_e64 v11, s[0:1], 0, v11, s[0:1]
	v_cmp_le_u32_e64 s[0:1], s25, v11
	v_cndmask_b32_e64 v13, 0, -1, s[0:1]
	v_cmp_le_u32_e64 s[0:1], s24, v12
	v_cndmask_b32_e64 v12, 0, -1, s[0:1]
	v_cmp_eq_u32_e64 s[0:1], s25, v11
	v_cndmask_b32_e64 v11, v13, v12, s[0:1]
	v_add_co_u32_e64 v12, s[0:1], 2, v4
	v_addc_co_u32_e64 v13, s[0:1], 0, v10, s[0:1]
	v_add_co_u32_e64 v14, s[0:1], 1, v4
	v_addc_co_u32_e64 v15, s[0:1], 0, v10, s[0:1]
	v_subb_co_u32_e32 v9, vcc, v6, v9, vcc
	v_cmp_ne_u32_e64 s[0:1], 0, v11
	v_cmp_le_u32_e32 vcc, s25, v9
	v_cndmask_b32_e64 v11, v15, v13, s[0:1]
	v_cndmask_b32_e64 v13, 0, -1, vcc
	v_cmp_le_u32_e32 vcc, s24, v8
	v_cndmask_b32_e64 v8, 0, -1, vcc
	v_cmp_eq_u32_e32 vcc, s25, v9
	v_cndmask_b32_e32 v8, v13, v8, vcc
	v_cmp_ne_u32_e32 vcc, 0, v8
	v_cndmask_b32_e64 v8, v14, v12, s[0:1]
	v_cndmask_b32_e32 v41, v10, v11, vcc
	v_cndmask_b32_e32 v40, v4, v8, vcc
.LBB0_4:                                ;   in Loop: Header=BB0_2 Depth=1
	s_andn2_saveexec_b64 s[0:1], s[26:27]
	s_cbranch_execz .LBB0_6
; %bb.5:                                ;   in Loop: Header=BB0_2 Depth=1
	v_cvt_f32_u32_e32 v4, s24
	s_sub_i32 s26, 0, s24
	v_mov_b32_e32 v41, v3
	v_rcp_iflag_f32_e32 v4, v4
	v_mul_f32_e32 v4, 0x4f7ffffe, v4
	v_cvt_u32_f32_e32 v4, v4
	v_mul_lo_u32 v8, s26, v4
	v_mul_hi_u32 v8, v4, v8
	v_add_u32_e32 v4, v4, v8
	v_mul_hi_u32 v4, v5, v4
	v_mul_lo_u32 v8, v4, s24
	v_add_u32_e32 v9, 1, v4
	v_sub_u32_e32 v8, v5, v8
	v_subrev_u32_e32 v10, s24, v8
	v_cmp_le_u32_e32 vcc, s24, v8
	v_cndmask_b32_e32 v8, v8, v10, vcc
	v_cndmask_b32_e32 v4, v4, v9, vcc
	v_add_u32_e32 v9, 1, v4
	v_cmp_le_u32_e32 vcc, s24, v8
	v_cndmask_b32_e32 v40, v4, v9, vcc
.LBB0_6:                                ;   in Loop: Header=BB0_2 Depth=1
	s_or_b64 exec, exec, s[0:1]
	v_mul_lo_u32 v4, v41, s24
	v_mul_lo_u32 v10, v40, s25
	v_mad_u64_u32 v[8:9], s[0:1], v40, s24, 0
	s_load_dwordx2 s[0:1], s[6:7], 0x0
	s_load_dwordx2 s[24:25], s[2:3], 0x0
	v_add3_u32 v4, v9, v10, v4
	v_sub_co_u32_e32 v5, vcc, v5, v8
	v_subb_co_u32_e32 v4, vcc, v6, v4, vcc
	s_waitcnt lgkmcnt(0)
	v_mul_lo_u32 v6, s0, v4
	v_mul_lo_u32 v8, s1, v5
	v_mad_u64_u32 v[1:2], s[0:1], s0, v5, v[1:2]
	v_mul_lo_u32 v4, s24, v4
	v_mul_lo_u32 v9, s25, v5
	v_mad_u64_u32 v[36:37], s[0:1], s24, v5, v[36:37]
	s_add_u32 s22, s22, 1
	s_addc_u32 s23, s23, 0
	s_add_u32 s2, s2, 8
	v_add3_u32 v37, v9, v37, v4
	s_addc_u32 s3, s3, 0
	v_mov_b32_e32 v4, s14
	s_add_u32 s6, s6, 8
	v_mov_b32_e32 v5, s15
	s_addc_u32 s7, s7, 0
	v_cmp_ge_u64_e32 vcc, s[22:23], v[4:5]
	s_add_u32 s20, s20, 8
	v_add3_u32 v2, v8, v2, v6
	s_addc_u32 s21, s21, 0
	s_cbranch_vccnz .LBB0_9
; %bb.7:                                ;   in Loop: Header=BB0_2 Depth=1
	v_mov_b32_e32 v5, v40
	v_mov_b32_e32 v6, v41
	s_branch .LBB0_2
.LBB0_8:
	v_mov_b32_e32 v37, v2
	v_mov_b32_e32 v41, v6
	;; [unrolled: 1-line block ×4, first 2 shown]
.LBB0_9:
	s_load_dwordx2 s[0:1], s[4:5], 0x28
	s_lshl_b64 s[6:7], s[14:15], 3
	s_add_u32 s2, s18, s6
	s_addc_u32 s3, s19, s7
	v_and_b32_e32 v38, 15, v0
	s_waitcnt lgkmcnt(0)
	v_cmp_gt_u64_e32 vcc, s[0:1], v[40:41]
	v_cmp_le_u64_e64 s[0:1], s[0:1], v[40:41]
                                        ; implicit-def: $vgpr42
                                        ; implicit-def: $vgpr52
                                        ; implicit-def: $vgpr50
                                        ; implicit-def: $vgpr58
                                        ; implicit-def: $vgpr48
                                        ; implicit-def: $vgpr56
                                        ; implicit-def: $vgpr46
                                        ; implicit-def: $vgpr54
                                        ; implicit-def: $vgpr44
	s_and_saveexec_b64 s[4:5], s[0:1]
	s_xor_b64 s[0:1], exec, s[4:5]
	s_cbranch_execz .LBB0_11
; %bb.10:
	v_and_b32_e32 v38, 15, v0
	v_mov_b32_e32 v39, 0
	v_or_b32_e32 v42, 16, v38
	v_or_b32_e32 v52, 0x50, v38
	;; [unrolled: 1-line block ×9, first 2 shown]
	v_mov_b32_e32 v43, v39
	v_mov_b32_e32 v59, v39
	v_mov_b32_e32 v57, v39
	v_mov_b32_e32 v55, v39
	v_mov_b32_e32 v53, v39
	v_mov_b32_e32 v51, v39
	v_mov_b32_e32 v49, v39
	v_mov_b32_e32 v47, v39
	v_mov_b32_e32 v45, v39
                                        ; implicit-def: $vgpr1_vgpr2
.LBB0_11:
	s_or_saveexec_b64 s[4:5], s[0:1]
	v_mul_u32_u24_e32 v0, 0x141, v7
	v_lshlrev_b32_e32 v65, 3, v0
	s_xor_b64 exec, exec, s[4:5]
	s_cbranch_execz .LBB0_13
; %bb.12:
	s_add_u32 s0, s16, s6
	s_addc_u32 s1, s17, s7
	s_load_dwordx2 s[0:1], s[0:1], 0x0
	v_lshlrev_b64 v[0:1], 3, v[1:2]
	v_mov_b32_e32 v7, s9
	v_lshlrev_b32_e32 v43, 3, v38
	v_mov_b32_e32 v39, 0
	s_waitcnt lgkmcnt(0)
	v_mul_lo_u32 v5, s1, v40
	v_mul_lo_u32 v6, s0, v41
	v_mad_u64_u32 v[3:4], s[0:1], s0, v40, 0
	v_or_b32_e32 v42, 16, v38
	v_or_b32_e32 v58, 32, v38
	v_add3_u32 v4, v4, v6, v5
	v_lshlrev_b64 v[2:3], 3, v[3:4]
	v_or_b32_e32 v56, 48, v38
	v_add_co_u32_e64 v2, s[0:1], s8, v2
	v_addc_co_u32_e64 v3, s[0:1], v7, v3, s[0:1]
	v_add_co_u32_e64 v0, s[0:1], v2, v0
	v_addc_co_u32_e64 v1, s[0:1], v3, v1, s[0:1]
	;; [unrolled: 2-line block ×3, first 2 shown]
	global_load_dwordx2 v[2:3], v[0:1], off
	global_load_dwordx2 v[4:5], v[0:1], off offset:128
	global_load_dwordx2 v[6:7], v[0:1], off offset:256
	;; [unrolled: 1-line block ×19, first 2 shown]
	v_or_b32_e32 v54, 64, v38
	v_or_b32_e32 v52, 0x50, v38
	;; [unrolled: 1-line block ×6, first 2 shown]
	v_add3_u32 v0, 0, v65, v43
	v_mov_b32_e32 v43, v39
	v_mov_b32_e32 v59, v39
	;; [unrolled: 1-line block ×9, first 2 shown]
	v_add_u32_e32 v1, 0x800, v0
	s_waitcnt vmcnt(18)
	ds_write2_b64 v0, v[2:3], v[4:5] offset1:16
	s_waitcnt vmcnt(16)
	ds_write2_b64 v0, v[6:7], v[8:9] offset0:32 offset1:48
	s_waitcnt vmcnt(14)
	ds_write2_b64 v0, v[10:11], v[12:13] offset0:64 offset1:80
	;; [unrolled: 2-line block ×7, first 2 shown]
	s_waitcnt vmcnt(2)
	ds_write2_b64 v1, v[34:35], v[60:61] offset1:16
	s_waitcnt vmcnt(0)
	ds_write2_b64 v1, v[62:63], v[66:67] offset0:32 offset1:48
.LBB0_13:
	s_or_b64 exec, exec, s[4:5]
	v_lshlrev_b32_e32 v61, 3, v38
	v_add3_u32 v62, 0, v61, v65
	v_add_u32_e32 v66, 0x400, v62
	s_load_dwordx2 s[2:3], s[2:3], 0x0
	s_waitcnt lgkmcnt(0)
	; wave barrier
	s_waitcnt lgkmcnt(0)
	ds_read2_b64 v[0:3], v62 offset0:48 offset1:64
	ds_read2_b64 v[4:7], v62 offset0:112 offset1:128
	;; [unrolled: 1-line block ×4, first 2 shown]
	v_add_u32_e32 v64, 0x800, v62
	ds_read2_b64 v[20:23], v62 offset0:80 offset1:96
	ds_read2_b64 v[24:27], v62 offset0:144 offset1:160
	;; [unrolled: 1-line block ×4, first 2 shown]
	s_waitcnt lgkmcnt(6)
	v_sub_f32_e32 v16, v2, v6
	s_waitcnt lgkmcnt(5)
	v_sub_f32_e32 v96, v6, v14
	;; [unrolled: 2-line block ×3, first 2 shown]
	v_add_f32_e32 v67, v16, v17
	v_sub_f32_e32 v16, v3, v7
	v_sub_f32_e32 v17, v11, v15
	v_add_f32_e32 v76, v16, v17
	s_waitcnt lgkmcnt(2)
	v_sub_f32_e32 v16, v22, v26
	s_waitcnt lgkmcnt(0)
	v_sub_f32_e32 v17, v30, v34
	v_add_f32_e32 v77, v16, v17
	ds_read2_b64 v[16:19], v62 offset0:16 offset1:32
	v_sub_f32_e32 v60, v23, v27
	v_sub_f32_e32 v63, v31, v35
	v_add_f32_e32 v78, v60, v63
	v_add_f32_e32 v60, v26, v34
	s_waitcnt lgkmcnt(0)
	v_fma_f32 v79, -0.5, v60, v18
	v_add_f32_e32 v60, v27, v35
	v_fma_f32 v82, -0.5, v60, v19
	v_add_u32_e32 v60, 0, v65
	v_add_u32_e32 v63, v60, v61
	v_sub_f32_e32 v80, v23, v31
	v_mov_b32_e32 v70, v79
	ds_read_b64 v[68:69], v63
	v_fmac_f32_e32 v70, 0x3f737871, v80
	v_sub_f32_e32 v81, v27, v35
	v_sub_f32_e32 v83, v22, v30
	v_mov_b32_e32 v71, v82
	v_fmac_f32_e32 v70, 0x3f167918, v81
	v_fmac_f32_e32 v71, 0xbf737871, v83
	v_sub_f32_e32 v84, v26, v34
	v_fmac_f32_e32 v70, 0x3e9e377a, v77
	v_fmac_f32_e32 v71, 0xbf167918, v84
	v_fmac_f32_e32 v71, 0x3e9e377a, v78
	v_mul_f32_e32 v85, 0x3f4f1bbd, v70
	v_mul_f32_e32 v86, 0xbf167918, v70
	v_fmac_f32_e32 v85, 0x3f167918, v71
	v_fmac_f32_e32 v86, 0x3f4f1bbd, v71
	ds_read_b64 v[70:71], v62 offset:2432
	s_waitcnt lgkmcnt(1)
	v_add_f32_e32 v72, v68, v2
	v_add_f32_e32 v72, v72, v6
	;; [unrolled: 1-line block ×5, first 2 shown]
	v_fma_f32 v88, -0.5, v72, v68
	v_add_f32_e32 v72, v69, v3
	v_add_f32_e32 v72, v72, v7
	;; [unrolled: 1-line block ×3, first 2 shown]
	v_sub_f32_e32 v94, v2, v10
	v_sub_f32_e32 v6, v6, v2
	v_add_f32_e32 v2, v2, v10
	v_add_f32_e32 v92, v72, v11
	;; [unrolled: 1-line block ×3, first 2 shown]
	v_sub_f32_e32 v14, v14, v10
	v_fma_f32 v10, -0.5, v2, v68
	v_add_f32_e32 v2, v3, v11
	v_fma_f32 v93, -0.5, v72, v69
	v_fmac_f32_e32 v69, -0.5, v2
	v_sub_f32_e32 v89, v3, v11
	v_sub_f32_e32 v2, v7, v3
	;; [unrolled: 1-line block ×3, first 2 shown]
	v_mov_b32_e32 v11, v69
	v_fmac_f32_e32 v11, 0x3f737871, v96
	v_fmac_f32_e32 v69, 0xbf737871, v96
	v_add_f32_e32 v2, v2, v3
	v_fmac_f32_e32 v11, 0xbf167918, v94
	v_fmac_f32_e32 v69, 0x3f167918, v94
	v_sub_f32_e32 v91, v7, v15
	v_add_f32_e32 v6, v6, v14
	v_mov_b32_e32 v14, v10
	v_fmac_f32_e32 v11, 0x3e9e377a, v2
	v_fmac_f32_e32 v69, 0x3e9e377a, v2
	v_sub_f32_e32 v2, v26, v22
	v_sub_f32_e32 v3, v34, v30
	v_fmac_f32_e32 v14, 0xbf737871, v91
	v_fmac_f32_e32 v10, 0x3f737871, v91
	v_add_f32_e32 v2, v2, v3
	v_add_f32_e32 v3, v22, v30
	v_fmac_f32_e32 v14, 0x3f167918, v89
	v_fmac_f32_e32 v10, 0xbf167918, v89
	v_fma_f32 v3, -0.5, v3, v18
	v_fmac_f32_e32 v14, 0x3e9e377a, v6
	v_fmac_f32_e32 v10, 0x3e9e377a, v6
	v_mov_b32_e32 v6, v3
	v_fmac_f32_e32 v6, 0xbf737871, v81
	v_fmac_f32_e32 v3, 0x3f737871, v81
	;; [unrolled: 1-line block ×6, first 2 shown]
	v_sub_f32_e32 v2, v27, v23
	v_sub_f32_e32 v7, v35, v31
	v_add_f32_e32 v2, v2, v7
	v_add_f32_e32 v7, v23, v31
	v_fma_f32 v7, -0.5, v7, v19
	v_add_f32_e32 v72, v18, v22
	v_mov_b32_e32 v15, v7
	v_add_f32_e32 v72, v72, v26
	v_fmac_f32_e32 v15, 0x3f737871, v84
	v_fmac_f32_e32 v7, 0xbf737871, v84
	v_add_f32_e32 v72, v72, v34
	v_fmac_f32_e32 v15, 0xbf167918, v83
	v_fmac_f32_e32 v7, 0x3f167918, v83
	v_add_f32_e32 v97, v72, v30
	v_add_f32_e32 v72, v19, v23
	v_fmac_f32_e32 v15, 0x3e9e377a, v2
	v_fmac_f32_e32 v7, 0x3e9e377a, v2
	v_mul_f32_e32 v19, 0xbf737871, v6
	s_mov_b32 s0, 0x3f737871
	v_mul_f32_e32 v2, 0x3e9e377a, v3
	v_mul_f32_e32 v18, 0x3f737871, v15
	v_fmac_f32_e32 v19, 0x3e9e377a, v15
	s_mov_b32 s1, 0xbf737871
	v_fma_f32 v15, v7, s0, -v2
	v_mul_f32_e32 v2, 0x3e9e377a, v7
	v_fmac_f32_e32 v79, 0xbf737871, v80
	v_mul_u32_u24_e32 v99, 10, v38
	v_fmac_f32_e32 v18, 0x3e9e377a, v6
	v_fma_f32 v22, v3, s1, -v2
	v_fmac_f32_e32 v79, 0xbf167918, v81
	v_fmac_f32_e32 v82, 0x3f737871, v83
	v_lshl_add_u32 v99, v99, 3, v60
	v_add_f32_e32 v2, v14, v18
	v_add_f32_e32 v3, v11, v19
	;; [unrolled: 1-line block ×4, first 2 shown]
	v_fmac_f32_e32 v79, 0x3e9e377a, v77
	v_fmac_f32_e32 v82, 0x3f167918, v84
	v_mov_b32_e32 v90, v88
	v_mov_b32_e32 v95, v93
	v_add_f32_e32 v72, v72, v27
	s_waitcnt lgkmcnt(0)
	; wave barrier
	s_waitcnt lgkmcnt(0)
	ds_write2_b64 v99, v[2:3], v[6:7] offset0:2 offset1:3
	v_fmac_f32_e32 v88, 0xbf737871, v89
	v_fmac_f32_e32 v93, 0x3f737871, v94
	;; [unrolled: 1-line block ×3, first 2 shown]
	s_mov_b32 s4, 0x3f167918
	v_mul_f32_e32 v6, 0x3f4f1bbd, v79
	v_fmac_f32_e32 v90, 0x3f737871, v89
	v_fmac_f32_e32 v95, 0xbf737871, v94
	v_add_f32_e32 v72, v72, v35
	v_fmac_f32_e32 v88, 0xbf167918, v91
	v_fmac_f32_e32 v93, 0x3f167918, v96
	s_mov_b32 s5, 0xbf167918
	v_fma_f32 v23, v82, s4, -v6
	v_mul_f32_e32 v6, 0x3f4f1bbd, v82
	v_fmac_f32_e32 v90, 0x3f167918, v91
	v_fmac_f32_e32 v95, 0xbf167918, v96
	v_add_f32_e32 v98, v72, v31
	v_fmac_f32_e32 v88, 0x3e9e377a, v67
	v_fmac_f32_e32 v93, 0x3e9e377a, v76
	v_fma_f32 v26, v79, s5, -v6
	v_fmac_f32_e32 v90, 0x3e9e377a, v67
	v_fmac_f32_e32 v95, 0x3e9e377a, v76
	v_sub_f32_e32 v2, v87, v97
	v_sub_f32_e32 v3, v92, v98
	v_add_f32_e32 v6, v88, v23
	v_add_f32_e32 v7, v93, v26
	ds_write2_b64 v99, v[6:7], v[2:3] offset0:4 offset1:5
	v_sub_f32_e32 v2, v90, v85
	v_sub_f32_e32 v3, v95, v86
	;; [unrolled: 1-line block ×4, first 2 shown]
	ds_write2_b64 v99, v[2:3], v[6:7] offset0:6 offset1:7
	v_sub_f32_e32 v3, v69, v22
	v_sub_f32_e32 v2, v10, v15
	;; [unrolled: 1-line block ×4, first 2 shown]
	ds_write2_b64 v99, v[2:3], v[6:7] offset0:8 offset1:9
	v_add_f32_e32 v2, v16, v20
	v_add_f32_e32 v2, v2, v24
	;; [unrolled: 1-line block ×6, first 2 shown]
	v_sub_f32_e32 v14, v25, v33
	v_sub_f32_e32 v7, v20, v24
	;; [unrolled: 1-line block ×3, first 2 shown]
	v_add_f32_e32 v11, v25, v33
	v_sub_f32_e32 v15, v24, v32
	v_sub_f32_e32 v18, v21, v25
	;; [unrolled: 1-line block ×3, first 2 shown]
	v_add_f32_e32 v23, v20, v28
	v_sub_f32_e32 v20, v20, v28
	v_add_f32_e32 v3, v3, v33
	v_sub_f32_e32 v24, v28, v32
	v_sub_f32_e32 v25, v32, v28
	v_add_f32_e32 v28, v2, v28
	v_add_f32_e32 v2, v0, v4
	v_sub_f32_e32 v22, v21, v29
	v_add_f32_e32 v21, v21, v29
	v_sub_f32_e32 v26, v29, v33
	v_sub_f32_e32 v27, v33, v29
	v_add_f32_e32 v29, v3, v29
	v_add_f32_e32 v2, v2, v12
	;; [unrolled: 1-line block ×7, first 2 shown]
	v_fma_f32 v30, -0.5, v30, v0
	v_add_f32_e32 v72, v87, v97
	v_add_f32_e32 v73, v92, v98
	;; [unrolled: 1-line block ×4, first 2 shown]
	v_sub_f32_e32 v32, v4, v12
	v_sub_f32_e32 v33, v12, v4
	;; [unrolled: 1-line block ×4, first 2 shown]
	v_add_f32_e32 v68, v4, v70
	v_sub_f32_e32 v69, v4, v70
	v_add_f32_e32 v3, v3, v9
	v_sub_f32_e32 v4, v70, v8
	v_sub_f32_e32 v8, v8, v70
	v_add_f32_e32 v70, v2, v70
	v_mov_b32_e32 v2, v30
	v_fma_f32 v34, -0.5, v34, v1
	ds_write2_b64 v99, v[72:73], v[74:75] offset1:1
	v_sub_f32_e32 v31, v13, v9
	v_sub_f32_e32 v35, v5, v13
	;; [unrolled: 1-line block ×3, first 2 shown]
	v_add_f32_e32 v72, v5, v71
	v_sub_f32_e32 v5, v71, v9
	v_sub_f32_e32 v9, v9, v71
	v_add_f32_e32 v71, v3, v71
	v_fmac_f32_e32 v2, 0x3f737871, v67
	v_mov_b32_e32 v3, v34
	v_fma_f32 v73, -0.5, v6, v16
	v_fma_f32 v74, -0.5, v11, v17
	v_add_f32_e32 v18, v18, v26
	v_add_f32_e32 v26, v32, v4
	v_fmac_f32_e32 v2, 0x3f167918, v31
	v_fmac_f32_e32 v3, 0xbf737871, v69
	v_mov_b32_e32 v6, v73
	v_mov_b32_e32 v11, v74
	v_add_f32_e32 v32, v35, v5
	v_fmac_f32_e32 v2, 0x3e9e377a, v26
	v_fmac_f32_e32 v3, 0xbf167918, v12
	v_fmac_f32_e32 v6, 0x3f737871, v22
	v_fmac_f32_e32 v11, 0xbf737871, v20
	v_fma_f32 v0, -0.5, v68, v0
	v_add_f32_e32 v24, v7, v24
	v_fmac_f32_e32 v3, 0x3e9e377a, v32
	v_mul_f32_e32 v7, 0x3f4f1bbd, v2
	v_mul_f32_e32 v35, 0xbf167918, v2
	v_fmac_f32_e32 v6, 0x3f167918, v14
	v_fmac_f32_e32 v11, 0xbf167918, v15
	v_fmac_f32_e32 v1, -0.5, v72
	v_add_f32_e32 v9, v13, v9
	v_mov_b32_e32 v13, v0
	v_fmac_f32_e32 v0, 0x3f737871, v31
	v_fmac_f32_e32 v7, 0x3f167918, v3
	v_fmac_f32_e32 v35, 0x3f4f1bbd, v3
	v_fmac_f32_e32 v6, 0x3e9e377a, v24
	v_fmac_f32_e32 v11, 0x3e9e377a, v18
	v_mul_i32_i24_e32 v75, 10, v42
	v_add_f32_e32 v8, v33, v8
	v_fmac_f32_e32 v0, 0xbf167918, v67
	v_mov_b32_e32 v33, v1
	v_fmac_f32_e32 v1, 0xbf737871, v12
	v_add_f32_e32 v2, v28, v70
	v_add_f32_e32 v3, v29, v71
	;; [unrolled: 1-line block ×4, first 2 shown]
	v_lshl_add_u32 v75, v75, 3, v60
	v_fmac_f32_e32 v0, 0x3e9e377a, v8
	v_fmac_f32_e32 v1, 0x3f167918, v69
	v_fmac_f32_e32 v17, -0.5, v21
	ds_write2_b64 v75, v[2:3], v[4:5] offset1:1
	v_fmac_f32_e32 v1, 0x3e9e377a, v9
	v_mul_f32_e32 v2, 0x3e9e377a, v0
	v_fma_f32 v4, -0.5, v23, v16
	v_mov_b32_e32 v16, v17
	v_fmac_f32_e32 v17, 0xbf737871, v15
	v_fma_f32 v2, v1, s0, -v2
	v_mul_f32_e32 v1, 0x3e9e377a, v1
	v_add_f32_e32 v19, v19, v27
	v_fmac_f32_e32 v17, 0x3f167918, v20
	v_fma_f32 v0, v0, s1, -v1
	v_fmac_f32_e32 v17, 0x3e9e377a, v19
	v_add_f32_e32 v1, v17, v0
	v_sub_f32_e32 v3, v17, v0
	v_mov_b32_e32 v17, v4
	v_fmac_f32_e32 v13, 0xbf737871, v31
	v_fmac_f32_e32 v33, 0x3f737871, v12
	;; [unrolled: 1-line block ×9, first 2 shown]
	v_add_f32_e32 v10, v10, v25
	v_fmac_f32_e32 v4, 0xbf167918, v22
	v_fmac_f32_e32 v17, 0x3f167918, v22
	;; [unrolled: 1-line block ×8, first 2 shown]
	v_sub_f32_e32 v6, v6, v7
	v_sub_f32_e32 v7, v11, v35
	v_fmac_f32_e32 v17, 0x3e9e377a, v10
	v_fmac_f32_e32 v16, 0xbf167918, v20
	v_mul_f32_e32 v10, 0x3f737871, v33
	v_mul_f32_e32 v11, 0xbf737871, v13
	v_fmac_f32_e32 v73, 0xbf737871, v22
	v_fmac_f32_e32 v74, 0x3f737871, v20
	v_fmac_f32_e32 v34, 0x3e9e377a, v32
	v_mul_f32_e32 v12, 0x3f4f1bbd, v30
	v_fmac_f32_e32 v16, 0x3e9e377a, v19
	v_fmac_f32_e32 v10, 0x3e9e377a, v13
	;; [unrolled: 1-line block ×5, first 2 shown]
	v_fma_f32 v14, v34, s4, -v12
	v_mul_f32_e32 v12, 0x3f4f1bbd, v34
	v_add_f32_e32 v0, v4, v2
	v_add_f32_e32 v8, v17, v10
	;; [unrolled: 1-line block ×3, first 2 shown]
	v_fmac_f32_e32 v73, 0x3e9e377a, v24
	v_fmac_f32_e32 v74, 0x3e9e377a, v18
	v_fma_f32 v15, v30, s5, -v12
	v_sub_f32_e32 v2, v4, v2
	v_sub_f32_e32 v4, v28, v70
	;; [unrolled: 1-line block ×5, first 2 shown]
	v_add_f32_e32 v12, v73, v14
	v_add_f32_e32 v13, v74, v15
	v_sub_f32_e32 v14, v73, v14
	v_sub_f32_e32 v15, v74, v15
	ds_write2_b64 v75, v[8:9], v[0:1] offset0:2 offset1:3
	ds_write2_b64 v75, v[12:13], v[4:5] offset0:4 offset1:5
	;; [unrolled: 1-line block ×4, first 2 shown]
	v_add_u32_e32 v0, -10, v38
	v_cmp_gt_u32_e64 s[0:1], 10, v38
	v_cndmask_b32_e64 v79, v0, v38, s[0:1]
	v_mul_i32_i24_e32 v0, 3, v79
	v_mov_b32_e32 v1, 0
	v_lshlrev_b64 v[2:3], 3, v[0:1]
	v_mov_b32_e32 v20, s13
	v_add_co_u32_e64 v18, s[0:1], s12, v2
	v_addc_co_u32_e64 v19, s[0:1], v20, v3, s[0:1]
	s_movk_i32 s0, 0xcd
	v_mul_lo_u16_sdwa v0, v42, s0 dst_sel:DWORD dst_unused:UNUSED_PAD src0_sel:BYTE_0 src1_sel:DWORD
	v_lshrrev_b16_e32 v0, 11, v0
	v_mul_lo_u16_e32 v6, 10, v0
	s_waitcnt lgkmcnt(0)
	; wave barrier
	s_waitcnt lgkmcnt(0)
	global_load_dwordx4 v[2:5], v[18:19], off
	v_sub_u16_e32 v80, v42, v6
	v_mov_b32_e32 v81, 3
	v_mul_u32_u24_sdwa v6, v80, v81 dst_sel:DWORD dst_unused:UNUSED_PAD src0_sel:BYTE_0 src1_sel:DWORD
	v_lshlrev_b32_e32 v10, 3, v6
	global_load_dwordx4 v[6:9], v10, s[12:13]
	global_load_dwordx2 v[22:23], v10, s[12:13] offset:16
	v_mul_lo_u16_sdwa v10, v58, s0 dst_sel:DWORD dst_unused:UNUSED_PAD src0_sel:BYTE_0 src1_sel:DWORD
	v_lshrrev_b16_e32 v82, 11, v10
	v_mul_lo_u16_e32 v10, 10, v82
	v_sub_u16_e32 v83, v58, v10
	v_mul_u32_u24_sdwa v10, v83, v81 dst_sel:DWORD dst_unused:UNUSED_PAD src0_sel:BYTE_0 src1_sel:DWORD
	v_lshlrev_b32_e32 v14, 3, v10
	global_load_dwordx2 v[30:31], v14, s[12:13] offset:16
	global_load_dwordx4 v[10:13], v14, s[12:13]
	v_mul_lo_u16_sdwa v14, v56, s0 dst_sel:DWORD dst_unused:UNUSED_PAD src0_sel:BYTE_0 src1_sel:DWORD
	v_lshrrev_b16_e32 v84, 11, v14
	v_mul_lo_u16_e32 v14, 10, v84
	v_sub_u16_e32 v85, v56, v14
	v_mul_u32_u24_sdwa v14, v85, v81 dst_sel:DWORD dst_unused:UNUSED_PAD src0_sel:BYTE_0 src1_sel:DWORD
	v_lshlrev_b32_e32 v21, 3, v14
	global_load_dwordx4 v[14:17], v21, s[12:13]
	global_load_dwordx2 v[67:68], v[18:19], off offset:16
	v_mul_lo_u16_sdwa v18, v54, s0 dst_sel:DWORD dst_unused:UNUSED_PAD src0_sel:BYTE_0 src1_sel:DWORD
	v_lshrrev_b16_e32 v86, 11, v18
	v_mul_lo_u16_e32 v18, 10, v86
	v_sub_u16_e32 v87, v54, v18
	v_mul_u32_u24_sdwa v18, v87, v81 dst_sel:DWORD dst_unused:UNUSED_PAD src0_sel:BYTE_0 src1_sel:DWORD
	v_lshlrev_b32_e32 v24, 3, v18
	global_load_dwordx4 v[32:35], v24, s[12:13]
	global_load_dwordx2 v[18:19], v21, s[12:13] offset:16
	global_load_dwordx2 v[71:72], v24, s[12:13] offset:16
	v_lshl_add_u32 v25, v52, 3, v60
	ds_read_b64 v[69:70], v25
	ds_read2_b64 v[26:29], v62 offset0:160 offset1:176
	v_lshl_add_u32 v24, v50, 3, v60
	s_movk_i32 s0, 0xffb8
	v_mad_i32_i24 v21, v42, s0, v75
	ds_read_b64 v[73:74], v24
	ds_read_b64 v[75:76], v21
	;; [unrolled: 1-line block ×3, first 2 shown]
	v_cmp_lt_u32_e64 s[0:1], 9, v38
	s_waitcnt vmcnt(9) lgkmcnt(4)
	v_mul_f32_e32 v88, v3, v70
	v_mul_f32_e32 v89, v3, v69
	v_fma_f32 v88, v2, v69, -v88
	v_fmac_f32_e32 v89, v2, v70
	s_waitcnt lgkmcnt(3)
	v_mul_f32_e32 v2, v27, v5
	v_fma_f32 v90, v26, v4, -v2
	v_mul_f32_e32 v91, v26, v5
	s_waitcnt vmcnt(8)
	v_mul_f32_e32 v2, v29, v9
	v_fmac_f32_e32 v91, v27, v4
	v_fma_f32 v92, v28, v8, -v2
	ds_read2_b64 v[2:5], v64 offset1:16
	v_mul_f32_e32 v93, v28, v9
	v_fmac_f32_e32 v93, v29, v8
	s_waitcnt lgkmcnt(3)
	v_mul_f32_e32 v8, v74, v7
	v_fma_f32 v94, v73, v6, -v8
	v_mul_f32_e32 v73, v73, v7
	v_fmac_f32_e32 v73, v74, v6
	s_waitcnt vmcnt(7) lgkmcnt(0)
	v_mul_f32_e32 v6, v3, v23
	v_lshl_add_u32 v28, v48, 3, v60
	v_fma_f32 v74, v2, v22, -v6
	v_mul_f32_e32 v95, v2, v23
	s_waitcnt vmcnt(6)
	v_mul_f32_e32 v2, v5, v31
	ds_read_b64 v[6:7], v28
	v_mul_f32_e32 v97, v4, v31
	v_fmac_f32_e32 v95, v3, v22
	v_fma_f32 v96, v4, v30, -v2
	v_fmac_f32_e32 v97, v5, v30
	ds_read2_b64 v[2:5], v62 offset0:192 offset1:208
	s_waitcnt vmcnt(5) lgkmcnt(1)
	v_mul_f32_e32 v27, v7, v11
	v_fma_f32 v98, v6, v10, -v27
	v_mul_f32_e32 v99, v6, v11
	v_lshl_add_u32 v26, v46, 3, v60
	s_waitcnt lgkmcnt(0)
	v_mul_f32_e32 v6, v3, v13
	v_fma_f32 v100, v2, v12, -v6
	v_mul_f32_e32 v13, v2, v13
	s_waitcnt vmcnt(4)
	v_mul_f32_e32 v2, v5, v17
	v_mul_f32_e32 v17, v4, v17
	v_lshl_add_u32 v30, v56, 3, v60
	v_lshl_add_u32 v31, v58, 3, v60
	ds_read_b64 v[8:9], v26
	ds_read_b64 v[22:23], v30
	;; [unrolled: 1-line block ×3, first 2 shown]
	v_fmac_f32_e32 v13, v3, v12
	v_fma_f32 v12, v4, v16, -v2
	v_fmac_f32_e32 v17, v5, v16
	ds_read2_b64 v[2:5], v62 offset0:224 offset1:240
	s_waitcnt lgkmcnt(3)
	v_mul_f32_e32 v6, v9, v15
	v_fma_f32 v16, v8, v14, -v6
	v_lshl_add_u32 v27, v44, 3, v60
	v_fmac_f32_e32 v99, v7, v10
	s_waitcnt vmcnt(3) lgkmcnt(0)
	v_mul_f32_e32 v6, v5, v68
	v_mul_f32_e32 v15, v8, v15
	v_fma_f32 v10, v4, v67, -v6
	v_mul_f32_e32 v11, v4, v68
	s_waitcnt vmcnt(2)
	v_mul_f32_e32 v4, v3, v35
	v_mul_f32_e32 v35, v2, v35
	ds_read_b64 v[6:7], v27
	v_fmac_f32_e32 v15, v9, v14
	v_fmac_f32_e32 v11, v5, v67
	v_fma_f32 v14, v2, v34, -v4
	v_fmac_f32_e32 v35, v3, v34
	ds_read2_b64 v[2:5], v64 offset0:32 offset1:48
	v_lshl_add_u32 v29, v54, 3, v60
	ds_read_b64 v[8:9], v29
	s_waitcnt lgkmcnt(2)
	v_mul_f32_e32 v34, v7, v33
	v_fma_f32 v34, v6, v32, -v34
	v_mul_f32_e32 v33, v6, v33
	s_waitcnt vmcnt(1) lgkmcnt(1)
	v_mul_f32_e32 v6, v3, v19
	v_fmac_f32_e32 v33, v7, v32
	v_fma_f32 v32, v2, v18, -v6
	v_mul_f32_e32 v19, v2, v19
	v_sub_f32_e32 v68, v77, v90
	v_sub_f32_e32 v6, v89, v11
	v_fmac_f32_e32 v19, v3, v18
	s_waitcnt vmcnt(0)
	v_mul_f32_e32 v2, v5, v72
	v_mul_f32_e32 v67, v4, v72
	v_fma_f32 v3, v89, 2.0, -v6
	v_sub_f32_e32 v6, v68, v6
	v_fma_f32 v18, v4, v71, -v2
	v_fmac_f32_e32 v67, v5, v71
	v_sub_f32_e32 v71, v78, v91
	v_fma_f32 v4, v77, 2.0, -v68
	v_sub_f32_e32 v7, v88, v10
	v_fma_f32 v10, v68, 2.0, -v6
	v_mov_b32_e32 v68, 0x140
	v_fma_f32 v5, v78, 2.0, -v71
	v_fma_f32 v2, v88, 2.0, -v7
	v_add_f32_e32 v7, v71, v7
	v_cndmask_b32_e64 v68, 0, v68, s[0:1]
	v_sub_f32_e32 v2, v4, v2
	v_sub_f32_e32 v3, v5, v3
	v_fma_f32 v11, v71, 2.0, -v7
	v_add_u32_e32 v68, 0, v68
	v_lshlrev_b32_e32 v71, 3, v79
	v_fma_f32 v4, v4, 2.0, -v2
	v_fma_f32 v5, v5, 2.0, -v3
	v_add3_u32 v68, v68, v71, v65
	s_waitcnt lgkmcnt(0)
	; wave barrier
	s_waitcnt lgkmcnt(0)
	ds_write2_b64 v68, v[4:5], v[10:11] offset1:10
	ds_write2_b64 v68, v[2:3], v[6:7] offset0:20 offset1:30
	v_sub_f32_e32 v10, v75, v92
	v_sub_f32_e32 v11, v76, v93
	;; [unrolled: 1-line block ×4, first 2 shown]
	v_fma_f32 v4, v75, 2.0, -v10
	v_fma_f32 v5, v76, 2.0, -v11
	;; [unrolled: 1-line block ×4, first 2 shown]
	s_movk_i32 s0, 0x140
	v_sub_f32_e32 v2, v4, v2
	v_sub_f32_e32 v3, v5, v3
	;; [unrolled: 1-line block ×3, first 2 shown]
	v_add_f32_e32 v7, v11, v7
	v_mad_u32_u24 v0, v0, s0, 0
	v_lshlrev_b32_sdwa v68, v81, v80 dst_sel:DWORD dst_unused:UNUSED_PAD src0_sel:DWORD src1_sel:BYTE_0
	v_fma_f32 v4, v4, 2.0, -v2
	v_fma_f32 v5, v5, 2.0, -v3
	;; [unrolled: 1-line block ×4, first 2 shown]
	v_add3_u32 v0, v0, v68, v65
	ds_write2_b64 v0, v[4:5], v[10:11] offset1:10
	ds_write2_b64 v0, v[2:3], v[6:7] offset0:20 offset1:30
	v_sub_f32_e32 v0, v69, v100
	v_sub_f32_e32 v11, v70, v13
	;; [unrolled: 1-line block ×4, first 2 shown]
	v_fma_f32 v4, v69, 2.0, -v0
	v_fma_f32 v5, v70, 2.0, -v11
	;; [unrolled: 1-line block ×4, first 2 shown]
	v_sub_f32_e32 v6, v0, v6
	v_sub_f32_e32 v2, v4, v2
	;; [unrolled: 1-line block ×3, first 2 shown]
	v_add_f32_e32 v7, v11, v7
	v_fma_f32 v10, v0, 2.0, -v6
	v_mad_u32_u24 v0, v82, s0, 0
	v_lshlrev_b32_sdwa v13, v81, v83 dst_sel:DWORD dst_unused:UNUSED_PAD src0_sel:DWORD src1_sel:BYTE_0
	v_fma_f32 v4, v4, 2.0, -v2
	v_fma_f32 v5, v5, 2.0, -v3
	;; [unrolled: 1-line block ×3, first 2 shown]
	v_add3_u32 v0, v0, v13, v65
	ds_write2_b64 v0, v[4:5], v[10:11] offset1:10
	ds_write2_b64 v0, v[2:3], v[6:7] offset0:20 offset1:30
	v_sub_f32_e32 v0, v22, v12
	v_sub_f32_e32 v11, v23, v17
	;; [unrolled: 1-line block ×4, first 2 shown]
	v_fma_f32 v4, v22, 2.0, -v0
	v_fma_f32 v5, v23, 2.0, -v11
	v_fma_f32 v2, v16, 2.0, -v7
	v_fma_f32 v3, v15, 2.0, -v6
	v_sub_f32_e32 v6, v0, v6
	v_sub_f32_e32 v2, v4, v2
	;; [unrolled: 1-line block ×3, first 2 shown]
	v_add_f32_e32 v7, v11, v7
	v_fma_f32 v10, v0, 2.0, -v6
	v_mad_u32_u24 v0, v84, s0, 0
	v_lshlrev_b32_sdwa v12, v81, v85 dst_sel:DWORD dst_unused:UNUSED_PAD src0_sel:DWORD src1_sel:BYTE_0
	v_fma_f32 v4, v4, 2.0, -v2
	v_fma_f32 v5, v5, 2.0, -v3
	;; [unrolled: 1-line block ×3, first 2 shown]
	v_add3_u32 v0, v0, v12, v65
	ds_write2_b64 v0, v[4:5], v[10:11] offset1:10
	ds_write2_b64 v0, v[2:3], v[6:7] offset0:20 offset1:30
	v_sub_f32_e32 v0, v8, v14
	v_sub_f32_e32 v10, v9, v35
	;; [unrolled: 1-line block ×4, first 2 shown]
	v_fma_f32 v4, v8, 2.0, -v0
	v_fma_f32 v5, v9, 2.0, -v10
	;; [unrolled: 1-line block ×4, first 2 shown]
	v_sub_f32_e32 v6, v0, v6
	v_add_f32_e32 v7, v10, v7
	v_sub_f32_e32 v2, v4, v2
	v_sub_f32_e32 v3, v5, v3
	v_fma_f32 v8, v0, 2.0, -v6
	v_fma_f32 v9, v10, 2.0, -v7
	v_lshlrev_b32_sdwa v0, v81, v87 dst_sel:DWORD dst_unused:UNUSED_PAD src0_sel:DWORD src1_sel:BYTE_0
	v_mad_u32_u24 v10, v86, s0, 0
	v_fma_f32 v4, v4, 2.0, -v2
	v_fma_f32 v5, v5, 2.0, -v3
	v_add3_u32 v0, v10, v0, v65
	ds_write2_b64 v0, v[4:5], v[8:9] offset1:10
	ds_write2_b64 v0, v[2:3], v[6:7] offset0:20 offset1:30
	v_mul_u32_u24_e32 v0, 3, v38
	v_lshlrev_b32_e32 v67, 3, v0
	v_mul_i32_i24_e32 v0, 3, v42
	v_lshlrev_b64 v[6:7], 3, v[0:1]
	s_waitcnt lgkmcnt(0)
	; wave barrier
	s_waitcnt lgkmcnt(0)
	global_load_dwordx4 v[2:5], v67, s[12:13] offset:240
	v_add_co_u32_e64 v10, s[0:1], s12, v6
	v_addc_co_u32_e64 v11, s[0:1], v20, v7, s[0:1]
	global_load_dwordx4 v[6:9], v[10:11], off offset:240
	global_load_dwordx2 v[18:19], v[10:11], off offset:256
	v_add_u32_e32 v0, -8, v38
	v_cmp_gt_u32_e64 s[0:1], 40, v58
	v_cndmask_b32_e64 v83, v0, v58, s[0:1]
	v_mul_i32_i24_e32 v0, 3, v83
	v_lshlrev_b64 v[0:1], 3, v[0:1]
	v_add_co_u32_e64 v0, s[0:1], s12, v0
	v_addc_co_u32_e64 v1, s[0:1], v20, v1, s[0:1]
	global_load_dwordx2 v[22:23], v[0:1], off offset:256
	global_load_dwordx4 v[10:13], v[0:1], off offset:240
	global_load_dwordx4 v[14:17], v67, s[12:13] offset:432
	global_load_dwordx2 v[71:72], v67, s[12:13] offset:256
	global_load_dwordx4 v[32:35], v67, s[12:13] offset:816
	global_load_dwordx2 v[73:74], v67, s[12:13] offset:448
	global_load_dwordx2 v[75:76], v67, s[12:13] offset:832
	ds_read_b64 v[0:1], v25
	ds_read2_b64 v[67:70], v62 offset0:160 offset1:176
	ds_read_b64 v[77:78], v24
	ds_read_b64 v[79:80], v21
	ds_read_b64 v[81:82], v63
	v_cmp_lt_u32_e64 s[0:1], 39, v58
	s_waitcnt vmcnt(9) lgkmcnt(4)
	v_mul_f32_e32 v84, v3, v1
	v_fma_f32 v84, v2, v0, -v84
	v_mul_f32_e32 v85, v3, v0
	s_waitcnt lgkmcnt(3)
	v_mul_f32_e32 v0, v5, v68
	v_fma_f32 v86, v4, v67, -v0
	v_mul_f32_e32 v67, v5, v67
	s_waitcnt vmcnt(8)
	v_mul_f32_e32 v0, v70, v9
	v_fmac_f32_e32 v85, v2, v1
	v_fmac_f32_e32 v67, v4, v68
	v_fma_f32 v68, v69, v8, -v0
	ds_read2_b64 v[0:3], v64 offset1:16
	v_mul_f32_e32 v69, v69, v9
	s_waitcnt lgkmcnt(3)
	v_mul_f32_e32 v4, v7, v78
	v_fmac_f32_e32 v69, v70, v8
	v_fma_f32 v70, v6, v77, -v4
	v_mul_f32_e32 v77, v7, v77
	s_waitcnt vmcnt(7) lgkmcnt(0)
	v_mul_f32_e32 v4, v1, v19
	v_fmac_f32_e32 v77, v6, v78
	v_fma_f32 v78, v0, v18, -v4
	ds_read_b64 v[4:5], v28
	v_mul_f32_e32 v87, v0, v19
	s_waitcnt vmcnt(6)
	v_mul_f32_e32 v0, v3, v23
	v_mul_f32_e32 v23, v2, v23
	v_fmac_f32_e32 v87, v1, v18
	v_fma_f32 v88, v2, v22, -v0
	v_fmac_f32_e32 v23, v3, v22
	ds_read2_b64 v[0:3], v62 offset0:192 offset1:208
	ds_read_b64 v[6:7], v26
	ds_read_b64 v[8:9], v30
	;; [unrolled: 1-line block ×3, first 2 shown]
	s_waitcnt vmcnt(5) lgkmcnt(4)
	v_mul_f32_e32 v22, v5, v11
	v_fma_f32 v22, v4, v10, -v22
	v_mul_f32_e32 v89, v4, v11
	s_waitcnt lgkmcnt(3)
	v_mul_f32_e32 v4, v1, v13
	v_fma_f32 v90, v0, v12, -v4
	v_mul_f32_e32 v13, v0, v13
	s_waitcnt vmcnt(4)
	v_mul_f32_e32 v0, v3, v17
	v_mul_f32_e32 v17, v2, v17
	v_fmac_f32_e32 v13, v1, v12
	v_fma_f32 v12, v2, v16, -v0
	v_fmac_f32_e32 v17, v3, v16
	ds_read2_b64 v[0:3], v62 offset0:224 offset1:240
	s_waitcnt lgkmcnt(3)
	v_mul_f32_e32 v4, v7, v15
	v_fma_f32 v16, v6, v14, -v4
	v_fmac_f32_e32 v89, v5, v10
	v_mul_f32_e32 v15, v6, v15
	s_waitcnt vmcnt(3) lgkmcnt(0)
	v_mul_f32_e32 v4, v72, v3
	v_fma_f32 v10, v71, v2, -v4
	ds_read_b64 v[4:5], v27
	v_mul_f32_e32 v11, v72, v2
	s_waitcnt vmcnt(2)
	v_mul_f32_e32 v2, v1, v35
	v_mul_f32_e32 v35, v0, v35
	v_fmac_f32_e32 v15, v7, v14
	v_fmac_f32_e32 v11, v71, v3
	v_fma_f32 v14, v0, v34, -v2
	v_fmac_f32_e32 v35, v1, v34
	ds_read2_b64 v[0:3], v64 offset0:32 offset1:48
	ds_read_b64 v[6:7], v29
	s_waitcnt lgkmcnt(2)
	v_mul_f32_e32 v34, v5, v33
	v_fma_f32 v34, v4, v32, -v34
	v_mul_f32_e32 v33, v4, v33
	s_waitcnt vmcnt(1) lgkmcnt(1)
	v_mul_f32_e32 v4, v1, v74
	v_mul_f32_e32 v71, v0, v74
	v_fmac_f32_e32 v33, v5, v32
	v_fma_f32 v32, v0, v73, -v4
	v_fmac_f32_e32 v71, v1, v73
	s_waitcnt vmcnt(0)
	v_mul_f32_e32 v0, v3, v76
	v_mul_f32_e32 v73, v2, v76
	v_sub_f32_e32 v74, v81, v86
	v_sub_f32_e32 v67, v82, v67
	;; [unrolled: 1-line block ×4, first 2 shown]
	v_fma_f32 v72, v2, v75, -v0
	v_fmac_f32_e32 v73, v3, v75
	v_fma_f32 v2, v81, 2.0, -v74
	v_fma_f32 v3, v82, 2.0, -v67
	;; [unrolled: 1-line block ×4, first 2 shown]
	v_sub_f32_e32 v0, v2, v0
	v_sub_f32_e32 v1, v3, v1
	;; [unrolled: 1-line block ×3, first 2 shown]
	v_add_f32_e32 v5, v67, v5
	v_fma_f32 v2, v2, 2.0, -v0
	v_fma_f32 v3, v3, 2.0, -v1
	;; [unrolled: 1-line block ×4, first 2 shown]
	s_waitcnt lgkmcnt(0)
	; wave barrier
	s_waitcnt lgkmcnt(0)
	ds_write2_b64 v62, v[2:3], v[10:11] offset1:40
	ds_write2_b64 v62, v[0:1], v[4:5] offset0:80 offset1:120
	v_sub_f32_e32 v10, v79, v68
	v_sub_f32_e32 v11, v80, v69
	;; [unrolled: 1-line block ×4, first 2 shown]
	v_fma_f32 v2, v79, 2.0, -v10
	v_fma_f32 v3, v80, 2.0, -v11
	;; [unrolled: 1-line block ×4, first 2 shown]
	v_sub_f32_e32 v0, v2, v0
	v_sub_f32_e32 v1, v3, v1
	v_sub_f32_e32 v4, v10, v4
	v_add_f32_e32 v5, v11, v5
	v_fma_f32 v2, v2, 2.0, -v0
	v_fma_f32 v3, v3, 2.0, -v1
	;; [unrolled: 1-line block ×4, first 2 shown]
	ds_write2_b64 v21, v[2:3], v[10:11] offset1:40
	ds_write2_b64 v21, v[0:1], v[4:5] offset0:80 offset1:120
	v_mov_b32_e32 v0, 0x500
	v_cndmask_b32_e64 v0, 0, v0, s[0:1]
	v_add_u32_e32 v0, 0, v0
	v_lshlrev_b32_e32 v1, 3, v83
	v_sub_f32_e32 v10, v18, v90
	v_sub_f32_e32 v11, v19, v13
	;; [unrolled: 1-line block ×4, first 2 shown]
	v_add3_u32 v65, v0, v1, v65
	v_fma_f32 v2, v18, 2.0, -v10
	v_fma_f32 v3, v19, 2.0, -v11
	;; [unrolled: 1-line block ×4, first 2 shown]
	v_sub_f32_e32 v0, v2, v0
	v_sub_f32_e32 v1, v3, v1
	;; [unrolled: 1-line block ×3, first 2 shown]
	v_add_f32_e32 v5, v11, v5
	v_fma_f32 v2, v2, 2.0, -v0
	v_fma_f32 v3, v3, 2.0, -v1
	v_fma_f32 v10, v10, 2.0, -v4
	v_fma_f32 v11, v11, 2.0, -v5
	ds_write2_b64 v65, v[2:3], v[10:11] offset1:40
	ds_write2_b64 v65, v[0:1], v[4:5] offset0:80 offset1:120
	v_sub_f32_e32 v11, v9, v17
	v_sub_f32_e32 v10, v8, v12
	v_fma_f32 v3, v9, 2.0, -v11
	v_sub_f32_e32 v9, v15, v71
	v_fma_f32 v2, v8, 2.0, -v10
	;; [unrolled: 2-line block ×3, first 2 shown]
	v_sub_f32_e32 v12, v6, v14
	v_sub_f32_e32 v13, v7, v35
	;; [unrolled: 1-line block ×4, first 2 shown]
	v_fma_f32 v0, v16, 2.0, -v8
	v_fma_f32 v6, v6, 2.0, -v12
	;; [unrolled: 1-line block ×5, first 2 shown]
	v_sub_f32_e32 v0, v2, v0
	v_sub_f32_e32 v1, v3, v1
	;; [unrolled: 1-line block ×4, first 2 shown]
	v_fma_f32 v2, v2, 2.0, -v0
	v_fma_f32 v3, v3, 2.0, -v1
	;; [unrolled: 1-line block ×4, first 2 shown]
	ds_write2_b64 v62, v[2:3], v[6:7] offset0:168 offset1:184
	v_sub_f32_e32 v2, v10, v9
	v_add_f32_e32 v3, v11, v8
	v_sub_f32_e32 v8, v12, v15
	v_add_f32_e32 v9, v13, v14
	v_fma_f32 v6, v10, 2.0, -v2
	v_fma_f32 v7, v11, 2.0, -v3
	;; [unrolled: 1-line block ×4, first 2 shown]
	ds_write2_b64 v62, v[6:7], v[10:11] offset0:208 offset1:224
	ds_write2_b64 v66, v[0:1], v[4:5] offset0:120 offset1:136
	;; [unrolled: 1-line block ×3, first 2 shown]
	v_lshlrev_b64 v[0:1], 3, v[38:39]
	s_waitcnt lgkmcnt(0)
	v_add_co_u32_e64 v18, s[0:1], s12, v0
	v_addc_co_u32_e64 v19, s[0:1], v20, v1, s[0:1]
	v_lshlrev_b64 v[0:1], 3, v[42:43]
	; wave barrier
	v_add_co_u32_e64 v10, s[0:1], s12, v0
	v_addc_co_u32_e64 v11, s[0:1], v20, v1, s[0:1]
	v_lshlrev_b64 v[0:1], 3, v[58:59]
	global_load_dwordx2 v[22:23], v[18:19], off offset:1200
	v_add_co_u32_e64 v12, s[0:1], s12, v0
	v_addc_co_u32_e64 v13, s[0:1], v20, v1, s[0:1]
	v_lshlrev_b64 v[0:1], 3, v[56:57]
	v_add_co_u32_e64 v16, s[0:1], s12, v0
	v_addc_co_u32_e64 v17, s[0:1], v20, v1, s[0:1]
	v_lshlrev_b64 v[0:1], 3, v[54:55]
	global_load_dwordx2 v[56:57], v[10:11], off offset:1200
	global_load_dwordx2 v[58:59], v[12:13], off offset:1200
	;; [unrolled: 1-line block ×3, first 2 shown]
	v_add_co_u32_e64 v14, s[0:1], s12, v0
	v_addc_co_u32_e64 v15, s[0:1], v20, v1, s[0:1]
	v_lshlrev_b64 v[0:1], 3, v[52:53]
	v_add_co_u32_e64 v8, s[0:1], s12, v0
	v_addc_co_u32_e64 v9, s[0:1], v20, v1, s[0:1]
	v_lshlrev_b64 v[0:1], 3, v[50:51]
	global_load_dwordx2 v[50:51], v[14:15], off offset:1200
	v_add_co_u32_e64 v6, s[0:1], s12, v0
	v_addc_co_u32_e64 v7, s[0:1], v20, v1, s[0:1]
	v_lshlrev_b64 v[0:1], 3, v[48:49]
	global_load_dwordx2 v[48:49], v[8:9], off offset:1200
	global_load_dwordx2 v[52:53], v[6:7], off offset:1200
	v_add_co_u32_e64 v4, s[0:1], s12, v0
	v_addc_co_u32_e64 v5, s[0:1], v20, v1, s[0:1]
	v_lshlrev_b64 v[0:1], 3, v[46:47]
	global_load_dwordx2 v[54:55], v[4:5], off offset:1200
	v_add_co_u32_e64 v2, s[0:1], s12, v0
	v_addc_co_u32_e64 v3, s[0:1], v20, v1, s[0:1]
	global_load_dwordx2 v[67:68], v[2:3], off offset:1200
	v_lshlrev_b64 v[0:1], 3, v[44:45]
	ds_read2_b64 v[32:35], v62 offset0:160 offset1:176
	v_add_co_u32_e64 v0, s[0:1], s12, v0
	v_addc_co_u32_e64 v1, s[0:1], v20, v1, s[0:1]
	global_load_dwordx2 v[69:70], v[0:1], off offset:1200
	ds_read2_b64 v[43:46], v62 offset0:192 offset1:208
	v_cmp_ne_u32_e64 s[0:1], 0, v38
	s_waitcnt vmcnt(9) lgkmcnt(1)
	v_mul_f32_e32 v20, v23, v33
	v_mul_f32_e32 v39, v23, v32
	v_fma_f32 v20, v22, v32, -v20
	v_fmac_f32_e32 v39, v22, v33
	s_waitcnt vmcnt(8)
	v_mul_f32_e32 v22, v57, v35
	v_mul_f32_e32 v72, v57, v34
	v_fma_f32 v71, v56, v34, -v22
	v_fmac_f32_e32 v72, v56, v35
	ds_read2_b64 v[32:35], v62 offset0:224 offset1:240
	s_waitcnt vmcnt(7) lgkmcnt(1)
	v_mul_f32_e32 v22, v59, v44
	v_fma_f32 v73, v58, v43, -v22
	v_mul_f32_e32 v59, v59, v43
	s_waitcnt vmcnt(6)
	v_mul_f32_e32 v22, v66, v46
	v_mul_f32_e32 v66, v66, v45
	v_fmac_f32_e32 v59, v58, v44
	v_fma_f32 v74, v65, v45, -v22
	v_fmac_f32_e32 v66, v65, v46
	ds_read2_b64 v[43:46], v64 offset1:16
	s_waitcnt vmcnt(5) lgkmcnt(1)
	v_mul_f32_e32 v22, v33, v51
	v_fma_f32 v65, v32, v50, -v22
	v_mul_f32_e32 v75, v32, v51
	v_fmac_f32_e32 v75, v33, v50
	s_waitcnt vmcnt(4)
	v_mul_f32_e32 v22, v35, v49
	v_mul_f32_e32 v77, v34, v49
	v_fma_f32 v76, v34, v48, -v22
	v_fmac_f32_e32 v77, v35, v48
	ds_read2_b64 v[32:35], v64 offset0:32 offset1:48
	s_waitcnt vmcnt(3) lgkmcnt(1)
	v_mul_f32_e32 v22, v44, v53
	v_fma_f32 v78, v43, v52, -v22
	s_waitcnt vmcnt(2)
	v_mul_f32_e32 v22, v46, v55
	v_fma_f32 v64, v45, v54, -v22
	v_mul_f32_e32 v79, v43, v53
	v_mul_f32_e32 v80, v45, v55
	v_fmac_f32_e32 v79, v44, v52
	s_waitcnt vmcnt(1) lgkmcnt(0)
	v_mul_f32_e32 v22, v33, v68
	v_fma_f32 v81, v32, v67, -v22
	ds_read_b64 v[22:23], v63
	v_mul_f32_e32 v68, v32, v68
	v_fmac_f32_e32 v68, v33, v67
	v_fmac_f32_e32 v80, v46, v54
	s_waitcnt vmcnt(0)
	v_mul_f32_e32 v32, v35, v70
	v_fma_f32 v67, v34, v69, -v32
	s_waitcnt lgkmcnt(0)
	v_sub_f32_e32 v32, v22, v20
	v_sub_f32_e32 v33, v23, v39
	v_mul_f32_e32 v70, v34, v70
	v_fma_f32 v22, v22, 2.0, -v32
	v_fma_f32 v23, v23, 2.0, -v33
	v_fmac_f32_e32 v70, v35, v69
	ds_read_b64 v[34:35], v31
	ds_read_b64 v[43:44], v24
	;; [unrolled: 1-line block ×9, first 2 shown]
	s_waitcnt lgkmcnt(0)
	; wave barrier
	s_waitcnt lgkmcnt(0)
	ds_write2_b64 v62, v[22:23], v[32:33] offset1:160
	v_sub_f32_e32 v22, v45, v71
	v_sub_f32_e32 v23, v46, v72
	v_fma_f32 v32, v45, 2.0, -v22
	v_fma_f32 v33, v46, 2.0, -v23
	ds_write2_b64 v21, v[32:33], v[22:23] offset1:160
	v_sub_f32_e32 v20, v34, v73
	v_sub_f32_e32 v21, v35, v59
	v_fma_f32 v22, v34, 2.0, -v20
	v_fma_f32 v23, v35, 2.0, -v21
	;; [unrolled: 5-line block ×8, first 2 shown]
	v_sub_f32_e32 v32, v57, v67
	v_sub_f32_e32 v33, v58, v70
	v_fma_f32 v34, v57, 2.0, -v32
	v_fma_f32 v35, v58, 2.0, -v33
	ds_write2_b64 v26, v[22:23], v[20:21] offset1:160
	ds_write2_b64 v27, v[34:35], v[32:33] offset1:160
	s_waitcnt lgkmcnt(0)
	; wave barrier
	s_waitcnt lgkmcnt(0)
	ds_read_b64 v[22:23], v63
	v_sub_u32_e32 v32, v60, v61
                                        ; implicit-def: $vgpr20
                                        ; implicit-def: $vgpr33
                                        ; implicit-def: $vgpr34
	s_and_saveexec_b64 s[4:5], s[0:1]
	s_xor_b64 s[0:1], exec, s[4:5]
	s_cbranch_execz .LBB0_15
; %bb.14:
	global_load_dwordx2 v[18:19], v[18:19], off offset:2480
	ds_read_b64 v[20:21], v32 offset:2560
	s_waitcnt lgkmcnt(0)
	v_add_f32_e32 v35, v20, v22
	v_sub_f32_e32 v20, v22, v20
	v_add_f32_e32 v33, v21, v23
	v_sub_f32_e32 v21, v23, v21
	v_mul_f32_e32 v23, 0.5, v20
	v_mul_f32_e32 v22, 0.5, v33
	;; [unrolled: 1-line block ×3, first 2 shown]
	s_waitcnt vmcnt(0)
	v_mul_f32_e32 v21, v19, v23
	v_fma_f32 v34, v22, v19, v20
	v_fma_f32 v19, v22, v19, -v20
	v_fma_f32 v33, 0.5, v35, v21
	v_fma_f32 v20, v35, 0.5, -v21
	v_fma_f32 v34, -v18, v23, v34
	v_fmac_f32_e32 v33, v18, v22
	v_fma_f32 v20, -v18, v22, v20
	v_fma_f32 v21, -v18, v23, v19
                                        ; implicit-def: $vgpr22_vgpr23
.LBB0_15:
	s_andn2_saveexec_b64 s[0:1], s[0:1]
	s_cbranch_execz .LBB0_17
; %bb.16:
	ds_read_b32 v18, v60 offset:1284
	s_waitcnt lgkmcnt(1)
	v_add_f32_e32 v33, v22, v23
	v_sub_f32_e32 v20, v22, v23
	v_mov_b32_e32 v34, 0
	v_mov_b32_e32 v21, 0
	s_waitcnt lgkmcnt(0)
	v_xor_b32_e32 v18, 0x80000000, v18
	ds_write_b32 v60, v18 offset:1284
.LBB0_17:
	s_or_b64 exec, exec, s[0:1]
	global_load_dwordx2 v[18:19], v[10:11], off offset:2480
	s_waitcnt lgkmcnt(0)
	global_load_dwordx2 v[22:23], v[12:13], off offset:2480
	global_load_dwordx2 v[43:44], v[16:17], off offset:2480
	ds_write2_b32 v63, v33, v34 offset1:1
	ds_write_b64 v32, v[20:21] offset:2560
	v_lshl_add_u32 v16, v42, 3, v60
	ds_read_b64 v[10:11], v16
	ds_read_b64 v[12:13], v32 offset:2432
	global_load_dwordx2 v[14:15], v[14:15], off offset:2480
	s_waitcnt lgkmcnt(0)
	v_add_f32_e32 v17, v10, v12
	v_sub_f32_e32 v10, v10, v12
	v_add_f32_e32 v20, v11, v13
	v_sub_f32_e32 v11, v11, v13
	v_mul_f32_e32 v10, 0.5, v10
	v_mul_f32_e32 v12, 0.5, v20
	;; [unrolled: 1-line block ×3, first 2 shown]
	s_waitcnt vmcnt(3)
	v_mul_f32_e32 v13, v19, v10
	v_fma_f32 v20, v12, v19, v11
	v_fma_f32 v11, v12, v19, -v11
	v_fma_f32 v19, 0.5, v17, v13
	v_fma_f32 v20, -v18, v10, v20
	v_fma_f32 v13, v17, 0.5, -v13
	v_fmac_f32_e32 v19, v18, v12
	v_fma_f32 v11, -v18, v10, v11
	v_fma_f32 v10, -v18, v12, v13
	ds_write2_b32 v16, v19, v20 offset1:1
	ds_write_b64 v32, v[10:11] offset:2432
	ds_read_b64 v[10:11], v31
	ds_read_b64 v[12:13], v32 offset:2304
	global_load_dwordx2 v[8:9], v[8:9], off offset:2480
	s_waitcnt lgkmcnt(0)
	v_add_f32_e32 v16, v10, v12
	v_sub_f32_e32 v10, v10, v12
	v_add_f32_e32 v17, v11, v13
	v_sub_f32_e32 v11, v11, v13
	v_mul_f32_e32 v10, 0.5, v10
	v_mul_f32_e32 v12, 0.5, v17
	;; [unrolled: 1-line block ×3, first 2 shown]
	s_waitcnt vmcnt(3)
	v_mul_f32_e32 v13, v23, v10
	v_fma_f32 v17, v12, v23, v11
	v_fma_f32 v18, 0.5, v16, v13
	v_fma_f32 v11, v12, v23, -v11
	v_fma_f32 v17, -v22, v10, v17
	v_fma_f32 v13, v16, 0.5, -v13
	v_fmac_f32_e32 v18, v22, v12
	v_fma_f32 v11, -v22, v10, v11
	v_fma_f32 v10, -v22, v12, v13
	ds_write2_b32 v31, v18, v17 offset1:1
	ds_write_b64 v32, v[10:11] offset:2304
	ds_read_b64 v[10:11], v30
	ds_read_b64 v[12:13], v32 offset:2176
	global_load_dwordx2 v[6:7], v[6:7], off offset:2480
	s_waitcnt lgkmcnt(0)
	v_add_f32_e32 v16, v10, v12
	v_sub_f32_e32 v10, v10, v12
	v_add_f32_e32 v17, v11, v13
	v_sub_f32_e32 v11, v11, v13
	v_mul_f32_e32 v10, 0.5, v10
	v_mul_f32_e32 v12, 0.5, v17
	;; [unrolled: 1-line block ×3, first 2 shown]
	s_waitcnt vmcnt(3)
	v_mul_f32_e32 v13, v44, v10
	v_fma_f32 v17, v12, v44, v11
	v_fma_f32 v18, 0.5, v16, v13
	v_fma_f32 v11, v12, v44, -v11
	v_fma_f32 v17, -v43, v10, v17
	v_fma_f32 v13, v16, 0.5, -v13
	v_fmac_f32_e32 v18, v43, v12
	v_fma_f32 v11, -v43, v10, v11
	v_fma_f32 v10, -v43, v12, v13
	ds_write2_b32 v30, v18, v17 offset1:1
	ds_write_b64 v32, v[10:11] offset:2176
	ds_read_b64 v[10:11], v29
	ds_read_b64 v[12:13], v32 offset:2048
	global_load_dwordx2 v[4:5], v[4:5], off offset:2480
	s_waitcnt lgkmcnt(0)
	v_add_f32_e32 v16, v10, v12
	v_sub_f32_e32 v10, v10, v12
	v_add_f32_e32 v17, v11, v13
	v_sub_f32_e32 v11, v11, v13
	v_mul_f32_e32 v10, 0.5, v10
	v_mul_f32_e32 v12, 0.5, v17
	v_mul_f32_e32 v11, 0.5, v11
	s_waitcnt vmcnt(3)
	v_mul_f32_e32 v13, v15, v10
	v_fma_f32 v17, v12, v15, v11
	v_fma_f32 v11, v12, v15, -v11
	v_fma_f32 v15, 0.5, v16, v13
	v_fma_f32 v17, -v14, v10, v17
	v_fma_f32 v13, v16, 0.5, -v13
	v_fmac_f32_e32 v15, v14, v12
	v_fma_f32 v11, -v14, v10, v11
	v_fma_f32 v10, -v14, v12, v13
	ds_write2_b32 v29, v15, v17 offset1:1
	ds_write_b64 v32, v[10:11] offset:2048
	ds_read_b64 v[10:11], v25
	ds_read_b64 v[12:13], v32 offset:1920
	global_load_dwordx2 v[2:3], v[2:3], off offset:2480
	s_waitcnt lgkmcnt(0)
	v_add_f32_e32 v14, v10, v12
	v_sub_f32_e32 v10, v10, v12
	v_add_f32_e32 v15, v11, v13
	v_sub_f32_e32 v11, v11, v13
	v_mul_f32_e32 v10, 0.5, v10
	v_mul_f32_e32 v12, 0.5, v15
	v_mul_f32_e32 v11, 0.5, v11
	s_waitcnt vmcnt(3)
	v_mul_f32_e32 v13, v9, v10
	v_fma_f32 v15, v12, v9, v11
	v_fma_f32 v9, v12, v9, -v11
	v_fma_f32 v11, 0.5, v14, v13
	;; [unrolled: 23-line block ×3, first 2 shown]
	v_fma_f32 v13, -v6, v8, v13
	v_fma_f32 v11, v12, 0.5, -v11
	v_fmac_f32_e32 v9, v6, v10
	v_fma_f32 v7, -v6, v8, v7
	v_fma_f32 v6, -v6, v10, v11
	ds_write2_b32 v24, v9, v13 offset1:1
	ds_write_b64 v32, v[6:7] offset:1792
	ds_read_b64 v[6:7], v28
	ds_read_b64 v[8:9], v32 offset:1664
	s_waitcnt lgkmcnt(0)
	v_add_f32_e32 v10, v6, v8
	v_sub_f32_e32 v6, v6, v8
	v_add_f32_e32 v11, v7, v9
	v_sub_f32_e32 v7, v7, v9
	v_mul_f32_e32 v6, 0.5, v6
	v_mul_f32_e32 v8, 0.5, v11
	;; [unrolled: 1-line block ×3, first 2 shown]
	s_waitcnt vmcnt(2)
	v_mul_f32_e32 v9, v5, v6
	v_fma_f32 v11, v8, v5, v7
	v_fma_f32 v12, 0.5, v10, v9
	v_fma_f32 v7, v8, v5, -v7
	v_fma_f32 v11, -v4, v6, v11
	v_fma_f32 v5, v10, 0.5, -v9
	v_fmac_f32_e32 v12, v4, v8
	v_fma_f32 v5, -v4, v8, v5
	v_fma_f32 v6, -v4, v6, v7
	ds_write2_b32 v28, v12, v11 offset1:1
	ds_write_b64 v32, v[5:6] offset:1664
	ds_read_b64 v[4:5], v26
	ds_read_b64 v[6:7], v32 offset:1536
	s_waitcnt lgkmcnt(0)
	v_add_f32_e32 v8, v4, v6
	v_sub_f32_e32 v4, v4, v6
	v_add_f32_e32 v9, v5, v7
	v_sub_f32_e32 v5, v5, v7
	v_mul_f32_e32 v6, 0.5, v4
	v_mul_f32_e32 v9, 0.5, v9
	;; [unrolled: 1-line block ×3, first 2 shown]
	s_waitcnt vmcnt(1)
	v_mul_f32_e32 v4, v3, v6
	v_fma_f32 v7, 0.5, v8, v4
	v_fma_f32 v10, v9, v3, v5
	v_fmac_f32_e32 v7, v2, v9
	v_fma_f32 v10, -v2, v6, v10
	v_fma_f32 v4, v8, 0.5, -v4
	v_fma_f32 v3, v9, v3, -v5
	v_fma_f32 v4, -v2, v9, v4
	v_fma_f32 v5, -v2, v6, v3
	ds_write2_b32 v26, v7, v10 offset1:1
	ds_write_b64 v32, v[4:5] offset:1536
	ds_read_b64 v[2:3], v27
	ds_read_b64 v[4:5], v32 offset:1408
	s_waitcnt lgkmcnt(0)
	v_add_f32_e32 v6, v2, v4
	v_sub_f32_e32 v2, v2, v4
	v_add_f32_e32 v7, v3, v5
	v_sub_f32_e32 v3, v3, v5
	v_mul_f32_e32 v4, 0.5, v2
	v_mul_f32_e32 v7, 0.5, v7
	;; [unrolled: 1-line block ×3, first 2 shown]
	s_waitcnt vmcnt(0)
	v_mul_f32_e32 v2, v1, v4
	v_fma_f32 v5, 0.5, v6, v2
	v_fma_f32 v8, v7, v1, v3
	v_fmac_f32_e32 v5, v0, v7
	v_fma_f32 v8, -v0, v4, v8
	v_fma_f32 v2, v6, 0.5, -v2
	v_fma_f32 v1, v7, v1, -v3
	v_fma_f32 v2, -v0, v7, v2
	v_fma_f32 v3, -v0, v4, v1
	ds_write2_b32 v27, v5, v8 offset1:1
	ds_write_b64 v32, v[2:3] offset:1408
	s_waitcnt lgkmcnt(0)
	; wave barrier
	s_waitcnt lgkmcnt(0)
	s_and_saveexec_b64 s[0:1], vcc
	s_cbranch_execz .LBB0_20
; %bb.18:
	v_mul_lo_u32 v2, s3, v40
	v_mul_lo_u32 v3, s2, v41
	v_mad_u64_u32 v[0:1], s[0:1], s2, v40, 0
	v_mov_b32_e32 v7, s11
	v_mov_b32_e32 v39, 0
	v_add3_u32 v1, v1, v3, v2
	v_lshlrev_b64 v[0:1], 3, v[0:1]
	v_lshl_add_u32 v2, v38, 3, v60
	v_add_co_u32_e32 v8, vcc, s10, v0
	v_addc_co_u32_e32 v7, vcc, v7, v1, vcc
	v_lshlrev_b64 v[0:1], 3, v[36:37]
	ds_read2_b64 v[3:6], v2 offset1:16
	v_add_co_u32_e32 v0, vcc, v8, v0
	v_addc_co_u32_e32 v1, vcc, v7, v1, vcc
	v_lshlrev_b64 v[7:8], 3, v[38:39]
	v_add_u32_e32 v9, 0x800, v2
	v_add_co_u32_e32 v7, vcc, v0, v7
	v_addc_co_u32_e32 v8, vcc, v1, v8, vcc
	s_waitcnt lgkmcnt(0)
	global_store_dwordx2 v[7:8], v[3:4], off
	v_add_u32_e32 v3, 16, v38
	v_mov_b32_e32 v4, v39
	v_lshlrev_b64 v[3:4], 3, v[3:4]
	v_add_u32_e32 v7, 32, v38
	v_add_co_u32_e32 v3, vcc, v0, v3
	v_addc_co_u32_e32 v4, vcc, v1, v4, vcc
	global_store_dwordx2 v[3:4], v[5:6], off
	v_mov_b32_e32 v8, v39
	ds_read2_b64 v[3:6], v2 offset0:32 offset1:48
	v_lshlrev_b64 v[7:8], 3, v[7:8]
	v_add_co_u32_e32 v7, vcc, v0, v7
	v_addc_co_u32_e32 v8, vcc, v1, v8, vcc
	s_waitcnt lgkmcnt(0)
	global_store_dwordx2 v[7:8], v[3:4], off
	v_add_u32_e32 v3, 48, v38
	v_mov_b32_e32 v4, v39
	v_lshlrev_b64 v[3:4], 3, v[3:4]
	v_add_u32_e32 v7, 64, v38
	v_add_co_u32_e32 v3, vcc, v0, v3
	v_addc_co_u32_e32 v4, vcc, v1, v4, vcc
	global_store_dwordx2 v[3:4], v[5:6], off
	v_mov_b32_e32 v8, v39
	ds_read2_b64 v[3:6], v2 offset0:64 offset1:80
	v_lshlrev_b64 v[7:8], 3, v[7:8]
	;; [unrolled: 14-line block ×7, first 2 shown]
	v_add_co_u32_e32 v7, vcc, v0, v7
	v_addc_co_u32_e32 v8, vcc, v1, v8, vcc
	s_waitcnt lgkmcnt(0)
	global_store_dwordx2 v[7:8], v[3:4], off
	v_add_u32_e32 v3, 0xf0, v38
	v_mov_b32_e32 v4, v39
	v_lshlrev_b64 v[3:4], 3, v[3:4]
	v_add_u32_e32 v7, 0x100, v38
	v_add_co_u32_e32 v3, vcc, v0, v3
	v_addc_co_u32_e32 v4, vcc, v1, v4, vcc
	global_store_dwordx2 v[3:4], v[5:6], off
	v_mov_b32_e32 v8, v39
	ds_read2_b64 v[3:6], v9 offset1:16
	v_lshlrev_b64 v[7:8], 3, v[7:8]
	v_add_co_u32_e32 v7, vcc, v0, v7
	v_addc_co_u32_e32 v8, vcc, v1, v8, vcc
	s_waitcnt lgkmcnt(0)
	global_store_dwordx2 v[7:8], v[3:4], off
	v_add_u32_e32 v3, 0x110, v38
	v_mov_b32_e32 v4, v39
	v_lshlrev_b64 v[3:4], 3, v[3:4]
	v_add_u32_e32 v7, 0x120, v38
	v_add_co_u32_e32 v3, vcc, v0, v3
	v_addc_co_u32_e32 v4, vcc, v1, v4, vcc
	global_store_dwordx2 v[3:4], v[5:6], off
	v_mov_b32_e32 v8, v39
	ds_read2_b64 v[3:6], v9 offset0:32 offset1:48
	v_lshlrev_b64 v[7:8], 3, v[7:8]
	v_add_co_u32_e32 v7, vcc, v0, v7
	v_addc_co_u32_e32 v8, vcc, v1, v8, vcc
	s_waitcnt lgkmcnt(0)
	global_store_dwordx2 v[7:8], v[3:4], off
	v_add_u32_e32 v3, 0x130, v38
	v_mov_b32_e32 v4, v39
	v_lshlrev_b64 v[3:4], 3, v[3:4]
	v_add_co_u32_e32 v3, vcc, v0, v3
	v_addc_co_u32_e32 v4, vcc, v1, v4, vcc
	v_cmp_eq_u32_e32 vcc, 15, v38
	global_store_dwordx2 v[3:4], v[5:6], off
	s_and_b64 exec, exec, vcc
	s_cbranch_execz .LBB0_20
; %bb.19:
	ds_read_b64 v[2:3], v2 offset:2440
	s_waitcnt lgkmcnt(0)
	global_store_dwordx2 v[0:1], v[2:3], off offset:2560
.LBB0_20:
	s_endpgm
	.section	.rodata,"a",@progbits
	.p2align	6, 0x0
	.amdhsa_kernel fft_rtc_fwd_len320_factors_10_4_4_2_wgs_64_tpt_16_halfLds_sp_op_CI_CI_unitstride_sbrr_R2C_dirReg
		.amdhsa_group_segment_fixed_size 0
		.amdhsa_private_segment_fixed_size 0
		.amdhsa_kernarg_size 104
		.amdhsa_user_sgpr_count 6
		.amdhsa_user_sgpr_private_segment_buffer 1
		.amdhsa_user_sgpr_dispatch_ptr 0
		.amdhsa_user_sgpr_queue_ptr 0
		.amdhsa_user_sgpr_kernarg_segment_ptr 1
		.amdhsa_user_sgpr_dispatch_id 0
		.amdhsa_user_sgpr_flat_scratch_init 0
		.amdhsa_user_sgpr_private_segment_size 0
		.amdhsa_uses_dynamic_stack 0
		.amdhsa_system_sgpr_private_segment_wavefront_offset 0
		.amdhsa_system_sgpr_workgroup_id_x 1
		.amdhsa_system_sgpr_workgroup_id_y 0
		.amdhsa_system_sgpr_workgroup_id_z 0
		.amdhsa_system_sgpr_workgroup_info 0
		.amdhsa_system_vgpr_workitem_id 0
		.amdhsa_next_free_vgpr 101
		.amdhsa_next_free_sgpr 28
		.amdhsa_reserve_vcc 1
		.amdhsa_reserve_flat_scratch 0
		.amdhsa_float_round_mode_32 0
		.amdhsa_float_round_mode_16_64 0
		.amdhsa_float_denorm_mode_32 3
		.amdhsa_float_denorm_mode_16_64 3
		.amdhsa_dx10_clamp 1
		.amdhsa_ieee_mode 1
		.amdhsa_fp16_overflow 0
		.amdhsa_exception_fp_ieee_invalid_op 0
		.amdhsa_exception_fp_denorm_src 0
		.amdhsa_exception_fp_ieee_div_zero 0
		.amdhsa_exception_fp_ieee_overflow 0
		.amdhsa_exception_fp_ieee_underflow 0
		.amdhsa_exception_fp_ieee_inexact 0
		.amdhsa_exception_int_div_zero 0
	.end_amdhsa_kernel
	.text
.Lfunc_end0:
	.size	fft_rtc_fwd_len320_factors_10_4_4_2_wgs_64_tpt_16_halfLds_sp_op_CI_CI_unitstride_sbrr_R2C_dirReg, .Lfunc_end0-fft_rtc_fwd_len320_factors_10_4_4_2_wgs_64_tpt_16_halfLds_sp_op_CI_CI_unitstride_sbrr_R2C_dirReg
                                        ; -- End function
	.section	.AMDGPU.csdata,"",@progbits
; Kernel info:
; codeLenInByte = 10176
; NumSgprs: 32
; NumVgprs: 101
; ScratchSize: 0
; MemoryBound: 0
; FloatMode: 240
; IeeeMode: 1
; LDSByteSize: 0 bytes/workgroup (compile time only)
; SGPRBlocks: 3
; VGPRBlocks: 25
; NumSGPRsForWavesPerEU: 32
; NumVGPRsForWavesPerEU: 101
; Occupancy: 2
; WaveLimiterHint : 1
; COMPUTE_PGM_RSRC2:SCRATCH_EN: 0
; COMPUTE_PGM_RSRC2:USER_SGPR: 6
; COMPUTE_PGM_RSRC2:TRAP_HANDLER: 0
; COMPUTE_PGM_RSRC2:TGID_X_EN: 1
; COMPUTE_PGM_RSRC2:TGID_Y_EN: 0
; COMPUTE_PGM_RSRC2:TGID_Z_EN: 0
; COMPUTE_PGM_RSRC2:TIDIG_COMP_CNT: 0
	.type	__hip_cuid_7e11ac310a4128c4,@object ; @__hip_cuid_7e11ac310a4128c4
	.section	.bss,"aw",@nobits
	.globl	__hip_cuid_7e11ac310a4128c4
__hip_cuid_7e11ac310a4128c4:
	.byte	0                               ; 0x0
	.size	__hip_cuid_7e11ac310a4128c4, 1

	.ident	"AMD clang version 19.0.0git (https://github.com/RadeonOpenCompute/llvm-project roc-6.4.0 25133 c7fe45cf4b819c5991fe208aaa96edf142730f1d)"
	.section	".note.GNU-stack","",@progbits
	.addrsig
	.addrsig_sym __hip_cuid_7e11ac310a4128c4
	.amdgpu_metadata
---
amdhsa.kernels:
  - .args:
      - .actual_access:  read_only
        .address_space:  global
        .offset:         0
        .size:           8
        .value_kind:     global_buffer
      - .offset:         8
        .size:           8
        .value_kind:     by_value
      - .actual_access:  read_only
        .address_space:  global
        .offset:         16
        .size:           8
        .value_kind:     global_buffer
      - .actual_access:  read_only
        .address_space:  global
        .offset:         24
        .size:           8
        .value_kind:     global_buffer
      - .actual_access:  read_only
        .address_space:  global
        .offset:         32
        .size:           8
        .value_kind:     global_buffer
      - .offset:         40
        .size:           8
        .value_kind:     by_value
      - .actual_access:  read_only
        .address_space:  global
        .offset:         48
        .size:           8
        .value_kind:     global_buffer
      - .actual_access:  read_only
        .address_space:  global
        .offset:         56
        .size:           8
        .value_kind:     global_buffer
      - .offset:         64
        .size:           4
        .value_kind:     by_value
      - .actual_access:  read_only
        .address_space:  global
        .offset:         72
        .size:           8
        .value_kind:     global_buffer
      - .actual_access:  read_only
        .address_space:  global
        .offset:         80
        .size:           8
        .value_kind:     global_buffer
      - .actual_access:  read_only
        .address_space:  global
        .offset:         88
        .size:           8
        .value_kind:     global_buffer
      - .actual_access:  write_only
        .address_space:  global
        .offset:         96
        .size:           8
        .value_kind:     global_buffer
    .group_segment_fixed_size: 0
    .kernarg_segment_align: 8
    .kernarg_segment_size: 104
    .language:       OpenCL C
    .language_version:
      - 2
      - 0
    .max_flat_workgroup_size: 64
    .name:           fft_rtc_fwd_len320_factors_10_4_4_2_wgs_64_tpt_16_halfLds_sp_op_CI_CI_unitstride_sbrr_R2C_dirReg
    .private_segment_fixed_size: 0
    .sgpr_count:     32
    .sgpr_spill_count: 0
    .symbol:         fft_rtc_fwd_len320_factors_10_4_4_2_wgs_64_tpt_16_halfLds_sp_op_CI_CI_unitstride_sbrr_R2C_dirReg.kd
    .uniform_work_group_size: 1
    .uses_dynamic_stack: false
    .vgpr_count:     101
    .vgpr_spill_count: 0
    .wavefront_size: 64
amdhsa.target:   amdgcn-amd-amdhsa--gfx906
amdhsa.version:
  - 1
  - 2
...

	.end_amdgpu_metadata
